;; amdgpu-corpus repo=ROCm/rocFFT kind=compiled arch=gfx1201 opt=O3
	.text
	.amdgcn_target "amdgcn-amd-amdhsa--gfx1201"
	.amdhsa_code_object_version 6
	.protected	fft_rtc_back_len1225_factors_5_5_7_7_wgs_175_tpt_175_halfLds_dp_op_CI_CI_sbrr_dirReg ; -- Begin function fft_rtc_back_len1225_factors_5_5_7_7_wgs_175_tpt_175_halfLds_dp_op_CI_CI_sbrr_dirReg
	.globl	fft_rtc_back_len1225_factors_5_5_7_7_wgs_175_tpt_175_halfLds_dp_op_CI_CI_sbrr_dirReg
	.p2align	8
	.type	fft_rtc_back_len1225_factors_5_5_7_7_wgs_175_tpt_175_halfLds_dp_op_CI_CI_sbrr_dirReg,@function
fft_rtc_back_len1225_factors_5_5_7_7_wgs_175_tpt_175_halfLds_dp_op_CI_CI_sbrr_dirReg: ; @fft_rtc_back_len1225_factors_5_5_7_7_wgs_175_tpt_175_halfLds_dp_op_CI_CI_sbrr_dirReg
; %bb.0:
	s_clause 0x2
	s_load_b128 s[12:15], s[0:1], 0x18
	s_load_b128 s[8:11], s[0:1], 0x0
	;; [unrolled: 1-line block ×3, first 2 shown]
	v_mul_u32_u24_e32 v1, 0x177, v0
	v_mov_b32_e32 v4, 0
	v_mov_b32_e32 v5, 0
	s_wait_kmcnt 0x0
	s_load_b64 s[18:19], s[12:13], 0x0
	s_load_b64 s[16:17], s[14:15], 0x0
	v_lshrrev_b32_e32 v2, 16, v1
	v_mov_b32_e32 v1, 0
	v_cmp_lt_u64_e64 s2, s[10:11], 2
	s_delay_alu instid0(VALU_DEP_2) | instskip(NEXT) | instid1(VALU_DEP_2)
	v_dual_mov_b32 v7, v1 :: v_dual_add_nc_u32 v6, ttmp9, v2
	s_and_b32 vcc_lo, exec_lo, s2
	s_cbranch_vccnz .LBB0_8
; %bb.1:
	s_load_b64 s[2:3], s[0:1], 0x10
	v_mov_b32_e32 v4, 0
	v_mov_b32_e32 v5, 0
	s_add_nc_u64 s[20:21], s[14:15], 8
	s_add_nc_u64 s[22:23], s[12:13], 8
	s_mov_b64 s[24:25], 1
	s_delay_alu instid0(VALU_DEP_1)
	v_dual_mov_b32 v55, v5 :: v_dual_mov_b32 v54, v4
	s_wait_kmcnt 0x0
	s_add_nc_u64 s[26:27], s[2:3], 8
	s_mov_b32 s3, 0
.LBB0_2:                                ; =>This Inner Loop Header: Depth=1
	s_load_b64 s[28:29], s[26:27], 0x0
                                        ; implicit-def: $vgpr56_vgpr57
	s_mov_b32 s2, exec_lo
	s_wait_kmcnt 0x0
	v_or_b32_e32 v2, s29, v7
	s_delay_alu instid0(VALU_DEP_1)
	v_cmpx_ne_u64_e32 0, v[1:2]
	s_wait_alu 0xfffe
	s_xor_b32 s30, exec_lo, s2
	s_cbranch_execz .LBB0_4
; %bb.3:                                ;   in Loop: Header=BB0_2 Depth=1
	s_cvt_f32_u32 s2, s28
	s_cvt_f32_u32 s31, s29
	s_sub_nc_u64 s[36:37], 0, s[28:29]
	s_wait_alu 0xfffe
	s_delay_alu instid0(SALU_CYCLE_1) | instskip(SKIP_1) | instid1(SALU_CYCLE_2)
	s_fmamk_f32 s2, s31, 0x4f800000, s2
	s_wait_alu 0xfffe
	v_s_rcp_f32 s2, s2
	s_delay_alu instid0(TRANS32_DEP_1) | instskip(SKIP_1) | instid1(SALU_CYCLE_2)
	s_mul_f32 s2, s2, 0x5f7ffffc
	s_wait_alu 0xfffe
	s_mul_f32 s31, s2, 0x2f800000
	s_wait_alu 0xfffe
	s_delay_alu instid0(SALU_CYCLE_2) | instskip(SKIP_1) | instid1(SALU_CYCLE_2)
	s_trunc_f32 s31, s31
	s_wait_alu 0xfffe
	s_fmamk_f32 s2, s31, 0xcf800000, s2
	s_cvt_u32_f32 s35, s31
	s_wait_alu 0xfffe
	s_delay_alu instid0(SALU_CYCLE_1) | instskip(SKIP_1) | instid1(SALU_CYCLE_2)
	s_cvt_u32_f32 s34, s2
	s_wait_alu 0xfffe
	s_mul_u64 s[38:39], s[36:37], s[34:35]
	s_wait_alu 0xfffe
	s_mul_hi_u32 s41, s34, s39
	s_mul_i32 s40, s34, s39
	s_mul_hi_u32 s2, s34, s38
	s_mul_i32 s33, s35, s38
	s_wait_alu 0xfffe
	s_add_nc_u64 s[40:41], s[2:3], s[40:41]
	s_mul_hi_u32 s31, s35, s38
	s_mul_hi_u32 s42, s35, s39
	s_add_co_u32 s2, s40, s33
	s_wait_alu 0xfffe
	s_add_co_ci_u32 s2, s41, s31
	s_mul_i32 s38, s35, s39
	s_add_co_ci_u32 s39, s42, 0
	s_wait_alu 0xfffe
	s_add_nc_u64 s[38:39], s[2:3], s[38:39]
	s_wait_alu 0xfffe
	v_add_co_u32 v2, s2, s34, s38
	s_delay_alu instid0(VALU_DEP_1) | instskip(SKIP_1) | instid1(VALU_DEP_1)
	s_cmp_lg_u32 s2, 0
	s_add_co_ci_u32 s35, s35, s39
	v_readfirstlane_b32 s34, v2
	s_wait_alu 0xfffe
	s_delay_alu instid0(VALU_DEP_1)
	s_mul_u64 s[36:37], s[36:37], s[34:35]
	s_wait_alu 0xfffe
	s_mul_hi_u32 s39, s34, s37
	s_mul_i32 s38, s34, s37
	s_mul_hi_u32 s2, s34, s36
	s_mul_i32 s33, s35, s36
	s_wait_alu 0xfffe
	s_add_nc_u64 s[38:39], s[2:3], s[38:39]
	s_mul_hi_u32 s31, s35, s36
	s_mul_hi_u32 s34, s35, s37
	s_wait_alu 0xfffe
	s_add_co_u32 s2, s38, s33
	s_add_co_ci_u32 s2, s39, s31
	s_mul_i32 s36, s35, s37
	s_add_co_ci_u32 s37, s34, 0
	s_wait_alu 0xfffe
	s_add_nc_u64 s[36:37], s[2:3], s[36:37]
	s_wait_alu 0xfffe
	v_add_co_u32 v8, s2, v2, s36
	s_delay_alu instid0(VALU_DEP_1) | instskip(SKIP_1) | instid1(VALU_DEP_1)
	s_cmp_lg_u32 s2, 0
	s_add_co_ci_u32 s2, s35, s37
	v_mul_hi_u32 v12, v6, v8
	s_wait_alu 0xfffe
	v_mad_co_u64_u32 v[2:3], null, v6, s2, 0
	v_mad_co_u64_u32 v[8:9], null, v7, v8, 0
	;; [unrolled: 1-line block ×3, first 2 shown]
	s_delay_alu instid0(VALU_DEP_3) | instskip(SKIP_1) | instid1(VALU_DEP_4)
	v_add_co_u32 v2, vcc_lo, v12, v2
	s_wait_alu 0xfffd
	v_add_co_ci_u32_e32 v3, vcc_lo, 0, v3, vcc_lo
	s_delay_alu instid0(VALU_DEP_2) | instskip(SKIP_1) | instid1(VALU_DEP_2)
	v_add_co_u32 v2, vcc_lo, v2, v8
	s_wait_alu 0xfffd
	v_add_co_ci_u32_e32 v2, vcc_lo, v3, v9, vcc_lo
	s_wait_alu 0xfffd
	v_add_co_ci_u32_e32 v3, vcc_lo, 0, v11, vcc_lo
	s_delay_alu instid0(VALU_DEP_2) | instskip(SKIP_1) | instid1(VALU_DEP_2)
	v_add_co_u32 v8, vcc_lo, v2, v10
	s_wait_alu 0xfffd
	v_add_co_ci_u32_e32 v9, vcc_lo, 0, v3, vcc_lo
	s_delay_alu instid0(VALU_DEP_2) | instskip(SKIP_1) | instid1(VALU_DEP_3)
	v_mul_lo_u32 v10, s29, v8
	v_mad_co_u64_u32 v[2:3], null, s28, v8, 0
	v_mul_lo_u32 v11, s28, v9
	s_delay_alu instid0(VALU_DEP_2) | instskip(NEXT) | instid1(VALU_DEP_2)
	v_sub_co_u32 v2, vcc_lo, v6, v2
	v_add3_u32 v3, v3, v11, v10
	s_delay_alu instid0(VALU_DEP_1) | instskip(SKIP_1) | instid1(VALU_DEP_1)
	v_sub_nc_u32_e32 v10, v7, v3
	s_wait_alu 0xfffd
	v_subrev_co_ci_u32_e64 v10, s2, s29, v10, vcc_lo
	v_add_co_u32 v11, s2, v8, 2
	s_wait_alu 0xf1ff
	v_add_co_ci_u32_e64 v12, s2, 0, v9, s2
	v_sub_co_u32 v13, s2, v2, s28
	v_sub_co_ci_u32_e32 v3, vcc_lo, v7, v3, vcc_lo
	s_wait_alu 0xf1ff
	v_subrev_co_ci_u32_e64 v10, s2, 0, v10, s2
	s_delay_alu instid0(VALU_DEP_3) | instskip(NEXT) | instid1(VALU_DEP_3)
	v_cmp_le_u32_e32 vcc_lo, s28, v13
	v_cmp_eq_u32_e64 s2, s29, v3
	s_wait_alu 0xfffd
	v_cndmask_b32_e64 v13, 0, -1, vcc_lo
	v_cmp_le_u32_e32 vcc_lo, s29, v10
	s_wait_alu 0xfffd
	v_cndmask_b32_e64 v14, 0, -1, vcc_lo
	v_cmp_le_u32_e32 vcc_lo, s28, v2
	;; [unrolled: 3-line block ×3, first 2 shown]
	s_wait_alu 0xfffd
	v_cndmask_b32_e64 v15, 0, -1, vcc_lo
	v_cmp_eq_u32_e32 vcc_lo, s29, v10
	s_wait_alu 0xf1ff
	s_delay_alu instid0(VALU_DEP_2)
	v_cndmask_b32_e64 v2, v15, v2, s2
	s_wait_alu 0xfffd
	v_cndmask_b32_e32 v10, v14, v13, vcc_lo
	v_add_co_u32 v13, vcc_lo, v8, 1
	s_wait_alu 0xfffd
	v_add_co_ci_u32_e32 v14, vcc_lo, 0, v9, vcc_lo
	s_delay_alu instid0(VALU_DEP_3) | instskip(SKIP_1) | instid1(VALU_DEP_2)
	v_cmp_ne_u32_e32 vcc_lo, 0, v10
	s_wait_alu 0xfffd
	v_dual_cndmask_b32 v3, v14, v12 :: v_dual_cndmask_b32 v10, v13, v11
	v_cmp_ne_u32_e32 vcc_lo, 0, v2
	s_wait_alu 0xfffd
	s_delay_alu instid0(VALU_DEP_2)
	v_dual_cndmask_b32 v57, v9, v3 :: v_dual_cndmask_b32 v56, v8, v10
.LBB0_4:                                ;   in Loop: Header=BB0_2 Depth=1
	s_wait_alu 0xfffe
	s_and_not1_saveexec_b32 s2, s30
	s_cbranch_execz .LBB0_6
; %bb.5:                                ;   in Loop: Header=BB0_2 Depth=1
	v_cvt_f32_u32_e32 v2, s28
	s_sub_co_i32 s30, 0, s28
	v_mov_b32_e32 v57, v1
	s_delay_alu instid0(VALU_DEP_2) | instskip(NEXT) | instid1(TRANS32_DEP_1)
	v_rcp_iflag_f32_e32 v2, v2
	v_mul_f32_e32 v2, 0x4f7ffffe, v2
	s_delay_alu instid0(VALU_DEP_1) | instskip(SKIP_1) | instid1(VALU_DEP_1)
	v_cvt_u32_f32_e32 v2, v2
	s_wait_alu 0xfffe
	v_mul_lo_u32 v3, s30, v2
	s_delay_alu instid0(VALU_DEP_1) | instskip(NEXT) | instid1(VALU_DEP_1)
	v_mul_hi_u32 v3, v2, v3
	v_add_nc_u32_e32 v2, v2, v3
	s_delay_alu instid0(VALU_DEP_1) | instskip(NEXT) | instid1(VALU_DEP_1)
	v_mul_hi_u32 v2, v6, v2
	v_mul_lo_u32 v3, v2, s28
	v_add_nc_u32_e32 v8, 1, v2
	s_delay_alu instid0(VALU_DEP_2) | instskip(NEXT) | instid1(VALU_DEP_1)
	v_sub_nc_u32_e32 v3, v6, v3
	v_subrev_nc_u32_e32 v9, s28, v3
	v_cmp_le_u32_e32 vcc_lo, s28, v3
	s_wait_alu 0xfffd
	s_delay_alu instid0(VALU_DEP_2) | instskip(NEXT) | instid1(VALU_DEP_1)
	v_dual_cndmask_b32 v3, v3, v9 :: v_dual_cndmask_b32 v2, v2, v8
	v_cmp_le_u32_e32 vcc_lo, s28, v3
	s_delay_alu instid0(VALU_DEP_2) | instskip(SKIP_1) | instid1(VALU_DEP_1)
	v_add_nc_u32_e32 v8, 1, v2
	s_wait_alu 0xfffd
	v_cndmask_b32_e32 v56, v2, v8, vcc_lo
.LBB0_6:                                ;   in Loop: Header=BB0_2 Depth=1
	s_wait_alu 0xfffe
	s_or_b32 exec_lo, exec_lo, s2
	v_mul_lo_u32 v8, v57, s28
	s_delay_alu instid0(VALU_DEP_2)
	v_mul_lo_u32 v9, v56, s29
	s_load_b64 s[30:31], s[22:23], 0x0
	v_mad_co_u64_u32 v[2:3], null, v56, s28, 0
	s_load_b64 s[28:29], s[20:21], 0x0
	s_add_nc_u64 s[24:25], s[24:25], 1
	s_add_nc_u64 s[20:21], s[20:21], 8
	s_wait_alu 0xfffe
	v_cmp_ge_u64_e64 s2, s[24:25], s[10:11]
	s_add_nc_u64 s[22:23], s[22:23], 8
	s_add_nc_u64 s[26:27], s[26:27], 8
	v_add3_u32 v3, v3, v9, v8
	v_sub_co_u32 v2, vcc_lo, v6, v2
	s_wait_alu 0xfffd
	s_delay_alu instid0(VALU_DEP_2) | instskip(SKIP_2) | instid1(VALU_DEP_1)
	v_sub_co_ci_u32_e32 v3, vcc_lo, v7, v3, vcc_lo
	s_and_b32 vcc_lo, exec_lo, s2
	s_wait_kmcnt 0x0
	v_mul_lo_u32 v6, s30, v3
	v_mul_lo_u32 v7, s31, v2
	v_mad_co_u64_u32 v[4:5], null, s30, v2, v[4:5]
	v_mul_lo_u32 v3, s28, v3
	v_mul_lo_u32 v8, s29, v2
	v_mad_co_u64_u32 v[54:55], null, s28, v2, v[54:55]
	s_delay_alu instid0(VALU_DEP_4) | instskip(NEXT) | instid1(VALU_DEP_2)
	v_add3_u32 v5, v7, v5, v6
	v_add3_u32 v55, v8, v55, v3
	s_wait_alu 0xfffe
	s_cbranch_vccnz .LBB0_9
; %bb.7:                                ;   in Loop: Header=BB0_2 Depth=1
	v_dual_mov_b32 v6, v56 :: v_dual_mov_b32 v7, v57
	s_branch .LBB0_2
.LBB0_8:
	v_dual_mov_b32 v55, v5 :: v_dual_mov_b32 v54, v4
	s_delay_alu instid0(VALU_DEP_2)
	v_dual_mov_b32 v57, v7 :: v_dual_mov_b32 v56, v6
.LBB0_9:
	s_load_b64 s[0:1], s[0:1], 0x28
	v_mul_hi_u32 v1, 0x1767dcf, v0
	s_lshl_b64 s[10:11], s[10:11], 3
                                        ; implicit-def: $vgpr61
	s_wait_alu 0xfffe
	s_add_nc_u64 s[2:3], s[14:15], s[10:11]
                                        ; implicit-def: $sgpr14
	s_wait_kmcnt 0x0
	v_cmp_gt_u64_e32 vcc_lo, s[0:1], v[56:57]
	v_cmp_le_u64_e64 s0, s[0:1], v[56:57]
	s_delay_alu instid0(VALU_DEP_1)
	s_and_saveexec_b32 s1, s0
	s_wait_alu 0xfffe
	s_xor_b32 s0, exec_lo, s1
; %bb.10:
	v_mul_u32_u24_e32 v1, 0xaf, v1
	s_mov_b32 s14, 0
                                        ; implicit-def: $vgpr4_vgpr5
	s_delay_alu instid0(VALU_DEP_1)
	v_sub_nc_u32_e32 v61, v0, v1
                                        ; implicit-def: $vgpr1
                                        ; implicit-def: $vgpr0
; %bb.11:
	s_wait_alu 0xfffe
	s_or_saveexec_b32 s1, s0
	s_load_b64 s[2:3], s[2:3], 0x0
	v_mov_b32_e32 v60, s14
                                        ; implicit-def: $vgpr30_vgpr31
                                        ; implicit-def: $vgpr34_vgpr35
                                        ; implicit-def: $vgpr38_vgpr39
                                        ; implicit-def: $vgpr42_vgpr43
                                        ; implicit-def: $vgpr48_vgpr49
                                        ; implicit-def: $vgpr2_vgpr3
                                        ; implicit-def: $vgpr10_vgpr11
                                        ; implicit-def: $vgpr14_vgpr15
                                        ; implicit-def: $vgpr18_vgpr19
                                        ; implicit-def: $vgpr22_vgpr23
	s_xor_b32 exec_lo, exec_lo, s1
	s_cbranch_execz .LBB0_15
; %bb.12:
	s_add_nc_u64 s[10:11], s[12:13], s[10:11]
	v_mul_u32_u24_e32 v1, 0xaf, v1
	s_load_b64 s[10:11], s[10:11], 0x0
	v_lshlrev_b64_e32 v[4:5], 4, v[4:5]
                                        ; implicit-def: $vgpr46_vgpr47
                                        ; implicit-def: $vgpr40_vgpr41
                                        ; implicit-def: $vgpr36_vgpr37
                                        ; implicit-def: $vgpr32_vgpr33
                                        ; implicit-def: $vgpr28_vgpr29
	s_delay_alu instid0(VALU_DEP_2) | instskip(NEXT) | instid1(VALU_DEP_1)
	v_sub_nc_u32_e32 v61, v0, v1
	v_add_nc_u32_e32 v16, 0xf5, v61
	v_add_nc_u32_e32 v17, 0x1ea, v61
	v_mad_co_u64_u32 v[0:1], null, s18, v61, 0
	v_add_nc_u32_e32 v19, 0x3d4, v61
	s_delay_alu instid0(VALU_DEP_4) | instskip(NEXT) | instid1(VALU_DEP_4)
	v_mad_co_u64_u32 v[2:3], null, s18, v16, 0
	v_mad_co_u64_u32 v[6:7], null, s18, v17, 0
	v_add_nc_u32_e32 v18, 0x2df, v61
	s_delay_alu instid0(VALU_DEP_4)
	v_mad_co_u64_u32 v[12:13], null, s18, v19, 0
	s_wait_kmcnt 0x0
	v_mul_lo_u32 v20, s11, v56
	v_mul_lo_u32 v21, s10, v57
	v_mad_co_u64_u32 v[10:11], null, s10, v56, 0
	v_mad_co_u64_u32 v[14:15], null, s19, v61, v[1:2]
	v_mov_b32_e32 v1, v3
	v_mov_b32_e32 v3, v7
	v_mad_co_u64_u32 v[8:9], null, s18, v18, 0
	v_add3_u32 v11, v11, v21, v20
	s_delay_alu instid0(VALU_DEP_4) | instskip(SKIP_1) | instid1(VALU_DEP_3)
	v_mad_co_u64_u32 v[15:16], null, s19, v16, v[1:2]
	v_mov_b32_e32 v1, v14
	v_lshlrev_b64_e32 v[10:11], 4, v[10:11]
	v_mov_b32_e32 v7, v9
	v_mov_b32_e32 v9, v13
	v_mad_co_u64_u32 v[13:14], null, s19, v17, v[3:4]
	v_mov_b32_e32 v3, v15
	s_delay_alu instid0(VALU_DEP_4) | instskip(SKIP_4) | instid1(VALU_DEP_3)
	v_mad_co_u64_u32 v[16:17], null, s19, v18, v[7:8]
	v_add_co_u32 v7, s0, s4, v10
	s_wait_alu 0xf1ff
	v_add_co_ci_u32_e64 v10, s0, s5, v11, s0
	v_lshlrev_b64_e32 v[0:1], 4, v[0:1]
	v_add_co_u32 v4, s0, v7, v4
	s_wait_alu 0xf1ff
	s_delay_alu instid0(VALU_DEP_3)
	v_add_co_ci_u32_e64 v5, s0, v10, v5, s0
	v_mad_co_u64_u32 v[10:11], null, s19, v19, v[9:10]
	v_mov_b32_e32 v7, v13
	v_lshlrev_b64_e32 v[2:3], 4, v[2:3]
	v_mov_b32_e32 v9, v16
	v_add_co_u32 v0, s0, v4, v0
	s_delay_alu instid0(VALU_DEP_4)
	v_lshlrev_b64_e32 v[6:7], 4, v[6:7]
	v_mov_b32_e32 v13, v10
	s_wait_alu 0xf1ff
	v_add_co_ci_u32_e64 v1, s0, v5, v1, s0
	v_add_co_u32 v2, s0, v4, v2
	v_lshlrev_b64_e32 v[8:9], 4, v[8:9]
	s_wait_alu 0xf1ff
	v_add_co_ci_u32_e64 v3, s0, v5, v3, s0
	v_add_co_u32 v6, s0, v4, v6
	v_lshlrev_b64_e32 v[10:11], 4, v[12:13]
	s_wait_alu 0xf1ff
	v_add_co_ci_u32_e64 v7, s0, v5, v7, s0
	v_add_co_u32 v8, s0, v4, v8
	s_wait_alu 0xf1ff
	v_add_co_ci_u32_e64 v9, s0, v5, v9, s0
	v_add_co_u32 v24, s0, v4, v10
	s_wait_alu 0xf1ff
	v_add_co_ci_u32_e64 v25, s0, v5, v11, s0
	s_clause 0x4
	global_load_b128 v[20:23], v[0:1], off
	global_load_b128 v[16:19], v[2:3], off
	global_load_b128 v[12:15], v[6:7], off
	global_load_b128 v[8:11], v[8:9], off
	global_load_b128 v[0:3], v[24:25], off
	s_mov_b32 s4, exec_lo
	v_cmpx_gt_u32_e32 0x46, v61
	s_cbranch_execz .LBB0_14
; %bb.13:
	v_add_nc_u32_e32 v35, 0x299, v61
	v_add_nc_u32_e32 v33, 0x1a4, v61
	v_add_nc_u32_e32 v37, 0x483, v61
	s_delay_alu instid0(VALU_DEP_3) | instskip(SKIP_1) | instid1(VALU_DEP_4)
	v_mad_co_u64_u32 v[26:27], null, s18, v35, 0
	v_add_nc_u32_e32 v30, 0xaf, v61
	v_mad_co_u64_u32 v[24:25], null, s18, v33, 0
	s_delay_alu instid0(VALU_DEP_2) | instskip(NEXT) | instid1(VALU_DEP_2)
	v_mad_co_u64_u32 v[6:7], null, s18, v30, 0
	v_mad_co_u64_u32 v[33:34], null, s19, v33, v[25:26]
	s_wait_loadcnt 0x1
	s_delay_alu instid0(VALU_DEP_2) | instskip(SKIP_2) | instid1(VALU_DEP_4)
	v_mad_co_u64_u32 v[30:31], null, s19, v30, v[7:8]
	v_dual_mov_b32 v7, v27 :: v_dual_add_nc_u32 v36, 0x38e, v61
	v_mad_co_u64_u32 v[31:32], null, s18, v37, 0
	v_mov_b32_e32 v25, v33
	s_delay_alu instid0(VALU_DEP_3) | instskip(SKIP_2) | instid1(VALU_DEP_4)
	v_mad_co_u64_u32 v[34:35], null, s19, v35, v[7:8]
	v_mov_b32_e32 v7, v30
	v_mad_co_u64_u32 v[28:29], null, s18, v36, 0
	v_lshlrev_b64_e32 v[24:25], 4, v[24:25]
	s_delay_alu instid0(VALU_DEP_3) | instskip(NEXT) | instid1(VALU_DEP_3)
	v_lshlrev_b64_e32 v[6:7], 4, v[6:7]
	v_mov_b32_e32 v27, v29
	v_mov_b32_e32 v29, v32
	s_delay_alu instid0(VALU_DEP_3) | instskip(SKIP_1) | instid1(VALU_DEP_4)
	v_add_co_u32 v6, s0, v4, v6
	s_wait_alu 0xf1ff
	v_add_co_ci_u32_e64 v7, s0, v5, v7, s0
	v_mad_co_u64_u32 v[32:33], null, s19, v36, v[27:28]
	v_mov_b32_e32 v27, v34
	v_mad_co_u64_u32 v[33:34], null, s19, v37, v[29:30]
	v_add_co_u32 v24, s0, v4, v24
	s_delay_alu instid0(VALU_DEP_3) | instskip(SKIP_4) | instid1(VALU_DEP_3)
	v_lshlrev_b64_e32 v[26:27], 4, v[26:27]
	v_mov_b32_e32 v29, v32
	s_wait_alu 0xf1ff
	v_add_co_ci_u32_e64 v25, s0, v5, v25, s0
	v_mov_b32_e32 v32, v33
	v_lshlrev_b64_e32 v[28:29], 4, v[28:29]
	v_add_co_u32 v26, s0, v4, v26
	s_delay_alu instid0(VALU_DEP_3) | instskip(SKIP_2) | instid1(VALU_DEP_4)
	v_lshlrev_b64_e32 v[30:31], 4, v[31:32]
	s_wait_alu 0xf1ff
	v_add_co_ci_u32_e64 v27, s0, v5, v27, s0
	v_add_co_u32 v28, s0, v4, v28
	s_wait_alu 0xf1ff
	v_add_co_ci_u32_e64 v29, s0, v5, v29, s0
	v_add_co_u32 v4, s0, v4, v30
	s_wait_alu 0xf1ff
	v_add_co_ci_u32_e64 v5, s0, v5, v31, s0
	s_clause 0x4
	global_load_b128 v[46:49], v[6:7], off
	global_load_b128 v[40:43], v[24:25], off
	;; [unrolled: 1-line block ×5, first 2 shown]
.LBB0_14:
	s_wait_alu 0xfffe
	s_or_b32 exec_lo, exec_lo, s4
	v_mov_b32_e32 v60, v61
.LBB0_15:
	s_or_b32 exec_lo, exec_lo, s1
	s_wait_loadcnt 0x1
	v_add_f64_e32 v[4:5], v[8:9], v[12:13]
	s_wait_loadcnt 0x0
	v_add_f64_e32 v[6:7], v[0:1], v[16:17]
	v_add_f64_e32 v[24:25], v[32:33], v[36:37]
	;; [unrolled: 1-line block ×4, first 2 shown]
	v_add_f64_e64 v[50:51], v[18:19], -v[2:3]
	v_add_f64_e32 v[52:53], v[40:41], v[46:47]
	v_add_f64_e64 v[58:59], v[14:15], -v[10:11]
	v_add_f64_e64 v[62:63], v[38:39], -v[34:35]
	s_mov_b32 s0, 0x134454ff
	s_mov_b32 s1, 0xbfee6f0e
	;; [unrolled: 1-line block ×3, first 2 shown]
	s_wait_alu 0xfffe
	s_mov_b32 s4, s0
	v_add_f64_e64 v[64:65], v[0:1], -v[8:9]
	v_add_f64_e64 v[66:67], v[12:13], -v[16:17]
	;; [unrolled: 1-line block ×7, first 2 shown]
	v_fma_f64 v[4:5], v[4:5], -0.5, v[20:21]
	v_fma_f64 v[6:7], v[6:7], -0.5, v[20:21]
	v_add_f64_e64 v[20:21], v[42:43], -v[30:31]
	v_fma_f64 v[24:25], v[24:25], -0.5, v[46:47]
	v_fma_f64 v[26:27], v[26:27], -0.5, v[46:47]
	v_add_f64_e64 v[46:47], v[16:17], -v[12:13]
	v_add_f64_e32 v[44:45], v[12:13], v[44:45]
	v_add_f64_e32 v[52:53], v[36:37], v[52:53]
	v_fma_f64 v[78:79], v[50:51], s[0:1], v[4:5]
	s_wait_alu 0xfffe
	v_fma_f64 v[80:81], v[58:59], s[4:5], v[6:7]
	v_fma_f64 v[6:7], v[58:59], s[0:1], v[6:7]
	;; [unrolled: 1-line block ×7, first 2 shown]
	s_mov_b32 s0, 0x4755a5e
	s_mov_b32 s1, 0xbfe2cf23
	;; [unrolled: 1-line block ×3, first 2 shown]
	s_wait_alu 0xfffe
	s_mov_b32 s4, s0
	v_add_f64_e32 v[46:47], v[64:65], v[46:47]
	v_add_f64_e32 v[64:65], v[68:69], v[66:67]
	;; [unrolled: 1-line block ×6, first 2 shown]
	v_fma_f64 v[70:71], v[58:59], s[0:1], v[78:79]
	v_fma_f64 v[72:73], v[50:51], s[0:1], v[80:81]
	s_wait_alu 0xfffe
	v_fma_f64 v[6:7], v[50:51], s[4:5], v[6:7]
	v_fma_f64 v[50:51], v[62:63], s[0:1], v[82:83]
	;; [unrolled: 1-line block ×6, first 2 shown]
	s_mov_b32 s0, 0x372fe950
	s_mov_b32 s1, 0x3fd3c6ef
	v_add_f64_e32 v[44:45], v[0:1], v[44:45]
	v_add_f64_e32 v[4:5], v[28:29], v[52:53]
	s_wait_alu 0xfffe
	v_fma_f64 v[52:53], v[46:47], s[0:1], v[70:71]
	v_fma_f64 v[70:71], v[64:65], s[0:1], v[6:7]
	;; [unrolled: 1-line block ×8, first 2 shown]
	v_mad_u32_u24 v63, v61, 40, 0
	v_cmp_gt_u32_e64 s0, 0x46, v61
	ds_store_2addr_b64 v63, v[44:45], v[52:53] offset1:1
	ds_store_2addr_b64 v63, v[58:59], v[70:71] offset0:2 offset1:3
	ds_store_b64 v63, v[46:47] offset:32
	v_add_nc_u32_e32 v64, 0x1b58, v63
	v_add_nc_u32_e32 v65, 0x1b68, v63
	s_and_saveexec_b32 s1, s0
	s_cbranch_execz .LBB0_17
; %bb.16:
	ds_store_2addr_b64 v65, v[24:25], v[26:27] offset1:1
	ds_store_2addr_b64 v64, v[4:5], v[6:7] offset1:1
	ds_store_b64 v63, v[20:21] offset:7032
.LBB0_17:
	s_wait_alu 0xfffe
	s_or_b32 exec_lo, exec_lo, s1
	v_lshlrev_b32_e32 v62, 5, v61
	global_wb scope:SCOPE_SE
	s_wait_dscnt 0x0
	s_wait_kmcnt 0x0
	s_barrier_signal -1
	s_barrier_wait -1
	global_inv scope:SCOPE_SE
	v_sub_nc_u32_e32 v58, v63, v62
	v_sub_nc_u32_e32 v62, 0, v62
	s_delay_alu instid0(VALU_DEP_2) | instskip(NEXT) | instid1(VALU_DEP_2)
	v_add_nc_u32_e32 v50, 0xf00, v58
	v_add_nc_u32_e32 v62, v63, v62
	ds_load_2addr_b64 v[44:47], v58 offset1:245
	ds_load_2addr_b64 v[50:53], v50 offset0:10 offset1:255
	ds_load_b64 v[58:59], v58 offset:7840
	s_and_saveexec_b32 s1, s0
	s_cbranch_execz .LBB0_19
; %bb.18:
	v_add_nc_u32_e32 v4, 0x540, v62
	v_add_nc_u32_e32 v20, 0x1480, v62
	ds_load_2addr_b64 v[4:7], v4 offset0:7 offset1:252
	ds_load_2addr_b64 v[24:27], v20 offset0:9 offset1:254
	ds_load_b64 v[20:21], v62 offset:9240
.LBB0_19:
	s_wait_alu 0xfffe
	s_or_b32 exec_lo, exec_lo, s1
	v_add_f64_e32 v[66:67], v[10:11], v[14:15]
	v_add_f64_e32 v[68:69], v[2:3], v[18:19]
	;; [unrolled: 1-line block ×5, first 2 shown]
	v_add_f64_e64 v[0:1], v[16:17], -v[0:1]
	v_add_f64_e32 v[16:17], v[42:43], v[48:49]
	v_add_f64_e64 v[8:9], v[12:13], -v[8:9]
	v_add_f64_e64 v[32:33], v[36:37], -v[32:33]
	s_mov_b32 s4, 0x134454ff
	s_mov_b32 s5, 0x3fee6f0e
	;; [unrolled: 1-line block ×3, first 2 shown]
	s_wait_alu 0xfffe
	s_mov_b32 s10, s4
	v_add_f64_e64 v[76:77], v[34:35], -v[30:31]
	global_wb scope:SCOPE_SE
	s_wait_dscnt 0x0
	s_barrier_signal -1
	s_barrier_wait -1
	global_inv scope:SCOPE_SE
	v_fma_f64 v[66:67], v[66:67], -0.5, v[22:23]
	v_fma_f64 v[12:13], v[68:69], -0.5, v[22:23]
	v_add_f64_e64 v[22:23], v[40:41], -v[28:29]
	v_fma_f64 v[28:29], v[70:71], -0.5, v[48:49]
	v_fma_f64 v[36:37], v[72:73], -0.5, v[48:49]
	v_add_f64_e64 v[40:41], v[18:19], -v[14:15]
	v_add_f64_e64 v[48:49], v[2:3], -v[10:11]
	;; [unrolled: 1-line block ×7, first 2 shown]
	v_add_f64_e32 v[14:15], v[14:15], v[74:75]
	v_add_f64_e32 v[16:17], v[38:39], v[16:17]
	v_fma_f64 v[38:39], v[0:1], s[4:5], v[66:67]
	s_wait_alu 0xfffe
	v_fma_f64 v[74:75], v[8:9], s[10:11], v[12:13]
	v_fma_f64 v[12:13], v[8:9], s[4:5], v[12:13]
	;; [unrolled: 1-line block ×7, first 2 shown]
	s_mov_b32 s4, 0x4755a5e
	s_mov_b32 s5, 0x3fe2cf23
	;; [unrolled: 1-line block ×3, first 2 shown]
	s_wait_alu 0xfffe
	s_mov_b32 s10, s4
	v_add_f64_e32 v[40:41], v[48:49], v[40:41]
	v_add_f64_e32 v[18:19], v[68:69], v[18:19]
	;; [unrolled: 1-line block ×6, first 2 shown]
	v_fma_f64 v[16:17], v[8:9], s[4:5], v[38:39]
	v_fma_f64 v[34:35], v[0:1], s[4:5], v[74:75]
	s_wait_alu 0xfffe
	v_fma_f64 v[12:13], v[0:1], s[10:11], v[12:13]
	v_fma_f64 v[38:39], v[32:33], s[4:5], v[78:79]
	;; [unrolled: 1-line block ×6, first 2 shown]
	s_mov_b32 s4, 0x372fe950
	s_mov_b32 s5, 0x3fd3c6ef
	v_add_f64_e32 v[10:11], v[2:3], v[10:11]
	v_add_f64_e32 v[0:1], v[30:31], v[14:15]
	s_wait_alu 0xfffe
	v_fma_f64 v[16:17], v[40:41], s[4:5], v[16:17]
	v_fma_f64 v[30:31], v[18:19], s[4:5], v[34:35]
	;; [unrolled: 1-line block ×8, first 2 shown]
	ds_store_2addr_b64 v63, v[10:11], v[16:17] offset1:1
	ds_store_2addr_b64 v63, v[30:31], v[18:19] offset0:2 offset1:3
	ds_store_b64 v63, v[8:9] offset:32
	s_and_saveexec_b32 s1, s0
	s_cbranch_execz .LBB0_21
; %bb.20:
	ds_store_2addr_b64 v65, v[12:13], v[14:15] offset1:1
	ds_store_2addr_b64 v64, v[0:1], v[2:3] offset1:1
	ds_store_b64 v63, v[22:23] offset:7032
.LBB0_21:
	s_wait_alu 0xfffe
	s_or_b32 exec_lo, exec_lo, s1
	v_add_nc_u32_e32 v16, 0xf00, v62
	global_wb scope:SCOPE_SE
	s_wait_dscnt 0x0
	s_barrier_signal -1
	s_barrier_wait -1
	global_inv scope:SCOPE_SE
	ds_load_2addr_b64 v[8:11], v62 offset1:245
	ds_load_2addr_b64 v[16:19], v16 offset0:10 offset1:255
	ds_load_b64 v[38:39], v62 offset:7840
	s_and_saveexec_b32 s1, s0
	s_cbranch_execz .LBB0_23
; %bb.22:
	v_add_nc_u32_e32 v0, 0x540, v62
	v_add_nc_u32_e32 v12, 0x1480, v62
	ds_load_2addr_b64 v[0:3], v0 offset0:7 offset1:252
	ds_load_2addr_b64 v[12:15], v12 offset0:9 offset1:254
	ds_load_b64 v[22:23], v62 offset:9240
.LBB0_23:
	s_wait_alu 0xfffe
	s_or_b32 exec_lo, exec_lo, s1
	v_and_b32_e32 v48, 0xff, v61
	v_add_nc_u32_e32 v95, 0xaf, v61
	s_mov_b32 s4, 0x134454ff
	s_mov_b32 s5, 0xbfee6f0e
	;; [unrolled: 1-line block ×3, first 2 shown]
	v_mul_lo_u16 v28, 0xcd, v48
	s_wait_alu 0xfffe
	s_mov_b32 s10, s4
	s_mov_b32 s12, 0x4755a5e
	;; [unrolled: 1-line block ×4, first 2 shown]
	v_lshrrev_b16 v93, 10, v28
	s_mov_b32 s14, s12
	s_mov_b32 s18, 0x372fe950
	;; [unrolled: 1-line block ×3, first 2 shown]
	s_delay_alu instid0(VALU_DEP_1) | instskip(NEXT) | instid1(VALU_DEP_1)
	v_mul_lo_u16 v28, v93, 5
	v_sub_nc_u16 v28, v61, v28
	s_delay_alu instid0(VALU_DEP_1) | instskip(NEXT) | instid1(VALU_DEP_1)
	v_and_b32_e32 v94, 0xff, v28
	v_lshlrev_b32_e32 v32, 6, v94
	s_clause 0x3
	global_load_b128 v[40:43], v32, s[8:9]
	global_load_b128 v[63:66], v32, s[8:9] offset:48
	global_load_b128 v[28:31], v32, s[8:9] offset:16
	;; [unrolled: 1-line block ×3, first 2 shown]
	v_and_b32_e32 v32, 0xffff, v95
	s_delay_alu instid0(VALU_DEP_1) | instskip(NEXT) | instid1(VALU_DEP_1)
	v_mul_u32_u24_e32 v32, 0xcccd, v32
	v_lshrrev_b32_e32 v32, 18, v32
	s_delay_alu instid0(VALU_DEP_1) | instskip(NEXT) | instid1(VALU_DEP_1)
	v_mul_lo_u16 v32, v32, 5
	v_sub_nc_u16 v32, v95, v32
	s_delay_alu instid0(VALU_DEP_1) | instskip(NEXT) | instid1(VALU_DEP_1)
	v_and_b32_e32 v96, 0xffff, v32
	v_lshlrev_b32_e32 v32, 6, v96
	s_clause 0x3
	global_load_b128 v[71:74], v32, s[8:9]
	global_load_b128 v[75:78], v32, s[8:9] offset:16
	global_load_b128 v[79:82], v32, s[8:9] offset:32
	;; [unrolled: 1-line block ×3, first 2 shown]
	global_wb scope:SCOPE_SE
	s_wait_loadcnt_dscnt 0x0
	s_barrier_signal -1
	s_barrier_wait -1
	global_inv scope:SCOPE_SE
	v_mul_f64_e32 v[32:33], v[10:11], v[42:43]
	v_mul_f64_e32 v[34:35], v[38:39], v[65:66]
	;; [unrolled: 1-line block ×7, first 2 shown]
	v_fma_f64 v[30:31], v[46:47], v[40:41], v[32:33]
	v_fma_f64 v[32:33], v[58:59], v[63:64], v[34:35]
	v_mul_f64_e32 v[58:59], v[58:59], v[65:66]
	v_fma_f64 v[34:35], v[50:51], v[28:29], v[36:37]
	v_fma_f64 v[36:37], v[52:53], v[67:68], v[87:88]
	v_fma_f64 v[46:47], v[10:11], v[40:41], -v[42:43]
	v_fma_f64 v[28:29], v[16:17], v[28:29], -v[89:90]
	;; [unrolled: 1-line block ×3, first 2 shown]
	v_mul_f64_e32 v[69:70], v[2:3], v[73:74]
	v_mul_f64_e32 v[73:74], v[6:7], v[73:74]
	;; [unrolled: 1-line block ×4, first 2 shown]
	v_add_f64_e32 v[42:43], v[44:45], v[30:31]
	v_add_f64_e32 v[18:19], v[30:31], v[32:33]
	v_fma_f64 v[10:11], v[38:39], v[63:64], -v[58:59]
	v_add_f64_e64 v[58:59], v[34:35], -v[30:31]
	v_add_f64_e32 v[38:39], v[34:35], v[36:37]
	v_add_f64_e64 v[51:52], v[32:33], -v[36:37]
	v_add_f64_e64 v[63:64], v[36:37], -v[32:33]
	;; [unrolled: 1-line block ×3, first 2 shown]
	v_fma_f64 v[24:25], v[24:25], v[75:76], v[87:88]
	v_add_f64_e32 v[42:43], v[42:43], v[34:35]
	v_fma_f64 v[18:19], v[18:19], -0.5, v[44:45]
	v_add_f64_e64 v[49:50], v[46:47], -v[10:11]
	v_fma_f64 v[38:39], v[38:39], -0.5, v[44:45]
	v_add_f64_e64 v[44:45], v[30:31], -v[34:35]
	v_add_f64_e32 v[58:59], v[58:59], v[63:64]
	v_mul_f64_e32 v[63:64], v[26:27], v[81:82]
	v_add_f64_e32 v[89:90], v[42:43], v[36:37]
	s_wait_alu 0xfffe
	v_fma_f64 v[65:66], v[40:41], s[10:11], v[18:19]
	v_fma_f64 v[18:19], v[40:41], s[4:5], v[18:19]
	;; [unrolled: 1-line block ×4, first 2 shown]
	v_add_f64_e32 v[44:45], v[44:45], v[51:52]
	v_mul_f64_e32 v[51:52], v[14:15], v[81:82]
	v_mul_f64_e32 v[81:82], v[22:23], v[85:86]
	;; [unrolled: 1-line block ×3, first 2 shown]
	v_fma_f64 v[65:66], v[49:50], s[12:13], v[65:66]
	v_fma_f64 v[49:50], v[49:50], s[14:15], v[18:19]
	v_fma_f64 v[18:19], v[12:13], v[75:76], -v[77:78]
	v_fma_f64 v[67:68], v[40:41], s[12:13], v[67:68]
	v_fma_f64 v[91:92], v[40:41], s[14:15], v[38:39]
	;; [unrolled: 1-line block ×3, first 2 shown]
	v_fma_f64 v[38:39], v[2:3], v[71:72], -v[73:74]
	v_fma_f64 v[26:27], v[26:27], v[79:80], v[51:52]
	v_fma_f64 v[12:13], v[14:15], v[79:80], -v[63:64]
	v_fma_f64 v[42:43], v[20:21], v[83:84], v[81:82]
	v_add_f64_e32 v[2:3], v[89:90], v[32:33]
	v_fma_f64 v[14:15], v[22:23], v[83:84], -v[85:86]
	v_and_b32_e32 v22, 0xffff, v93
	v_lshlrev_b32_e32 v23, 3, v94
	s_delay_alu instid0(VALU_DEP_2) | instskip(SKIP_2) | instid1(VALU_DEP_3)
	v_mul_u32_u24_e32 v22, 0xc8, v22
	v_fma_f64 v[20:21], v[58:59], s[18:19], v[65:66]
	v_fma_f64 v[50:51], v[58:59], s[18:19], v[49:50]
	v_add3_u32 v49, 0, v22, v23
	v_fma_f64 v[6:7], v[44:45], s[18:19], v[67:68]
	v_fma_f64 v[52:53], v[44:45], s[18:19], v[91:92]
	v_and_b32_e32 v45, 0xff, v95
	v_lshlrev_b32_e32 v44, 3, v96
	ds_store_2addr_b64 v49, v[2:3], v[6:7] offset1:5
	ds_store_2addr_b64 v49, v[20:21], v[50:51] offset0:10 offset1:15
	ds_store_b64 v49, v[52:53] offset:160
	s_and_saveexec_b32 s1, s0
	s_cbranch_execz .LBB0_25
; %bb.24:
	v_add_f64_e32 v[2:3], v[40:41], v[42:43]
	v_add_f64_e32 v[6:7], v[24:25], v[26:27]
	v_add_f64_e64 v[20:21], v[38:39], -v[14:15]
	v_add_f64_e32 v[50:51], v[4:5], v[40:41]
	v_add_f64_e64 v[22:23], v[18:19], -v[12:13]
	v_add_f64_e64 v[52:53], v[26:27], -v[42:43]
	;; [unrolled: 1-line block ×4, first 2 shown]
	v_fma_f64 v[2:3], v[2:3], -0.5, v[4:5]
	v_fma_f64 v[4:5], v[6:7], -0.5, v[4:5]
	v_add_f64_e64 v[6:7], v[24:25], -v[40:41]
	v_add_f64_e32 v[50:51], v[50:51], v[24:25]
	s_delay_alu instid0(VALU_DEP_4) | instskip(NEXT) | instid1(VALU_DEP_4)
	v_fma_f64 v[65:66], v[22:23], s[4:5], v[2:3]
	v_fma_f64 v[67:68], v[20:21], s[4:5], v[4:5]
	;; [unrolled: 1-line block ×4, first 2 shown]
	v_add_f64_e32 v[6:7], v[6:7], v[52:53]
	v_add_f64_e32 v[52:53], v[58:59], v[63:64]
	;; [unrolled: 1-line block ×3, first 2 shown]
	v_fma_f64 v[58:59], v[20:21], s[14:15], v[65:66]
	v_fma_f64 v[63:64], v[22:23], s[12:13], v[67:68]
	;; [unrolled: 1-line block ×4, first 2 shown]
	v_add_f64_e32 v[20:21], v[50:51], v[42:43]
	v_fma_f64 v[22:23], v[6:7], s[18:19], v[58:59]
	v_fma_f64 v[50:51], v[52:53], s[18:19], v[63:64]
	;; [unrolled: 1-line block ×4, first 2 shown]
	v_mul_lo_u16 v6, 0xcd, v45
	s_delay_alu instid0(VALU_DEP_1) | instskip(NEXT) | instid1(VALU_DEP_1)
	v_lshrrev_b16 v6, 10, v6
	v_and_b32_e32 v6, 0xffff, v6
	s_delay_alu instid0(VALU_DEP_1) | instskip(NEXT) | instid1(VALU_DEP_1)
	v_mul_u32_u24_e32 v6, 0xc8, v6
	v_add3_u32 v6, 0, v6, v44
	ds_store_2addr_b64 v6, v[20:21], v[50:51] offset1:5
	ds_store_2addr_b64 v6, v[2:3], v[22:23] offset0:10 offset1:15
	ds_store_b64 v6, v[4:5] offset:160
.LBB0_25:
	s_wait_alu 0xfffe
	s_or_b32 exec_lo, exec_lo, s1
	v_add_f64_e32 v[2:3], v[28:29], v[16:17]
	v_add_f64_e32 v[4:5], v[46:47], v[10:11]
	;; [unrolled: 1-line block ×3, first 2 shown]
	v_add_f64_e64 v[20:21], v[30:31], -v[32:33]
	v_add_f64_e64 v[22:23], v[34:35], -v[36:37]
	;; [unrolled: 1-line block ×5, first 2 shown]
	global_wb scope:SCOPE_SE
	s_wait_dscnt 0x0
	s_barrier_signal -1
	s_barrier_wait -1
	global_inv scope:SCOPE_SE
	v_fma_f64 v[2:3], v[2:3], -0.5, v[8:9]
	v_fma_f64 v[4:5], v[4:5], -0.5, v[8:9]
	v_add_f64_e64 v[8:9], v[46:47], -v[28:29]
	v_add_f64_e32 v[6:7], v[6:7], v[28:29]
	s_delay_alu instid0(VALU_DEP_4) | instskip(NEXT) | instid1(VALU_DEP_4)
	v_fma_f64 v[28:29], v[20:21], s[10:11], v[2:3]
	v_fma_f64 v[36:37], v[22:23], s[4:5], v[4:5]
	;; [unrolled: 1-line block ×4, first 2 shown]
	v_add_f64_e32 v[8:9], v[8:9], v[30:31]
	v_add_f64_e32 v[6:7], v[6:7], v[16:17]
	;; [unrolled: 1-line block ×3, first 2 shown]
	v_fma_f64 v[16:17], v[22:23], s[14:15], v[28:29]
	v_fma_f64 v[28:29], v[20:21], s[14:15], v[36:37]
	;; [unrolled: 1-line block ×4, first 2 shown]
	v_lshl_add_u32 v22, v61, 3, 0
	v_add_f64_e32 v[32:33], v[6:7], v[10:11]
	v_add_nc_u32_e32 v23, 0xa00, v62
	v_fma_f64 v[34:35], v[8:9], s[18:19], v[16:17]
	v_fma_f64 v[36:37], v[30:31], s[18:19], v[28:29]
	;; [unrolled: 1-line block ×4, first 2 shown]
	v_add_nc_u32_e32 v28, 0x1400, v62
	ds_load_b64 v[16:17], v62 offset:8400
	ds_load_b64 v[10:11], v62
	ds_load_b64 v[20:21], v22 offset:1400
	ds_load_2addr_b64 v[6:9], v23 offset0:30 offset1:205
	ds_load_2addr_b64 v[2:5], v28 offset0:60 offset1:235
	global_wb scope:SCOPE_SE
	s_wait_dscnt 0x0
	s_barrier_signal -1
	s_barrier_wait -1
	global_inv scope:SCOPE_SE
	ds_store_2addr_b64 v49, v[32:33], v[34:35] offset1:5
	ds_store_2addr_b64 v49, v[36:37], v[29:30] offset0:10 offset1:15
	ds_store_b64 v49, v[46:47] offset:160
	s_and_saveexec_b32 s1, s0
	s_cbranch_execz .LBB0_27
; %bb.26:
	v_add_f64_e32 v[29:30], v[18:19], v[12:13]
	v_add_f64_e32 v[31:32], v[38:39], v[14:15]
	;; [unrolled: 1-line block ×3, first 2 shown]
	v_add_f64_e64 v[35:36], v[40:41], -v[42:43]
	v_add_f64_e64 v[24:25], v[24:25], -v[26:27]
	s_mov_b32 s4, 0x134454ff
	s_mov_b32 s5, 0x3fee6f0e
	;; [unrolled: 1-line block ×3, first 2 shown]
	s_wait_alu 0xfffe
	s_mov_b32 s10, s4
	v_fma_f64 v[26:27], v[29:30], -0.5, v[0:1]
	v_fma_f64 v[0:1], v[31:32], -0.5, v[0:1]
	v_add_f64_e64 v[29:30], v[38:39], -v[18:19]
	v_add_f64_e64 v[31:32], v[14:15], -v[12:13]
	;; [unrolled: 1-line block ×3, first 2 shown]
	v_add_f64_e32 v[18:19], v[33:34], v[18:19]
	v_add_f64_e64 v[39:40], v[12:13], -v[14:15]
	v_fma_f64 v[33:34], v[35:36], s[4:5], v[26:27]
	s_wait_alu 0xfffe
	v_fma_f64 v[41:42], v[24:25], s[10:11], v[0:1]
	v_fma_f64 v[0:1], v[24:25], s[4:5], v[0:1]
	;; [unrolled: 1-line block ×3, first 2 shown]
	s_mov_b32 s4, 0x4755a5e
	s_mov_b32 s5, 0x3fe2cf23
	s_mov_b32 s11, 0xbfe2cf23
	s_wait_alu 0xfffe
	s_mov_b32 s10, s4
	v_add_f64_e32 v[29:30], v[29:30], v[31:32]
	v_add_f64_e32 v[12:13], v[18:19], v[12:13]
	;; [unrolled: 1-line block ×3, first 2 shown]
	v_fma_f64 v[18:19], v[24:25], s[4:5], v[33:34]
	v_fma_f64 v[33:34], v[35:36], s[4:5], v[41:42]
	s_wait_alu 0xfffe
	v_fma_f64 v[0:1], v[35:36], s[10:11], v[0:1]
	v_fma_f64 v[24:25], v[24:25], s[10:11], v[26:27]
	s_mov_b32 s4, 0x372fe950
	s_mov_b32 s5, 0x3fd3c6ef
	v_mul_lo_u16 v26, 0xcd, v45
	v_add_f64_e32 v[12:13], v[12:13], v[14:15]
	s_delay_alu instid0(VALU_DEP_2) | instskip(NEXT) | instid1(VALU_DEP_1)
	v_lshrrev_b16 v26, 10, v26
	v_and_b32_e32 v26, 0xffff, v26
	s_delay_alu instid0(VALU_DEP_1) | instskip(NEXT) | instid1(VALU_DEP_1)
	v_mul_u32_u24_e32 v26, 0xc8, v26
	v_add3_u32 v26, 0, v26, v44
	s_wait_alu 0xfffe
	v_fma_f64 v[14:15], v[29:30], s[4:5], v[18:19]
	v_fma_f64 v[18:19], v[31:32], s[4:5], v[33:34]
	;; [unrolled: 1-line block ×4, first 2 shown]
	ds_store_2addr_b64 v26, v[12:13], v[14:15] offset1:5
	ds_store_2addr_b64 v26, v[18:19], v[0:1] offset0:10 offset1:15
	ds_store_b64 v26, v[24:25] offset:160
.LBB0_27:
	s_wait_alu 0xfffe
	s_or_b32 exec_lo, exec_lo, s1
	v_mul_lo_u16 v0, v48, 41
	global_wb scope:SCOPE_SE
	s_wait_dscnt 0x0
	s_barrier_signal -1
	s_barrier_wait -1
	global_inv scope:SCOPE_SE
	v_lshrrev_b16 v53, 10, v0
	s_mov_b32 s24, 0x37e14327
	s_mov_b32 s26, 0xe976ee23
	;; [unrolled: 1-line block ×4, first 2 shown]
	v_mul_lo_u16 v0, v53, 25
	s_mov_b32 s0, 0x429ad128
	s_mov_b32 s4, 0x36b3c0b5
	;; [unrolled: 1-line block ×4, first 2 shown]
	v_sub_nc_u16 v0, v61, v0
	s_mov_b32 s10, 0xaaaaaaaa
	s_mov_b32 s20, 0xb247c609
	;; [unrolled: 1-line block ×4, first 2 shown]
	v_and_b32_e32 v73, 0xff, v0
	s_mov_b32 s21, 0xbfd5d0dc
	s_mov_b32 s13, 0x3fe77f67
	;; [unrolled: 1-line block ×4, first 2 shown]
	v_mul_u32_u24_e32 v0, 6, v73
	s_wait_alu 0xfffe
	s_mov_b32 s18, s12
	s_mov_b32 s22, s20
	;; [unrolled: 1-line block ×4, first 2 shown]
	v_lshlrev_b32_e32 v0, 4, v0
	s_clause 0x5
	global_load_b128 v[12:15], v0, s[8:9] offset:320
	global_load_b128 v[24:27], v0, s[8:9] offset:336
	;; [unrolled: 1-line block ×6, first 2 shown]
	ds_load_b64 v[0:1], v22 offset:1400
	ds_load_2addr_b64 v[45:48], v23 offset0:30 offset1:205
	ds_load_b64 v[18:19], v62 offset:8400
	ds_load_2addr_b64 v[49:52], v28 offset0:60 offset1:235
	s_wait_loadcnt_dscnt 0x503
	v_mul_f64_e32 v[58:59], v[0:1], v[14:15]
	s_wait_loadcnt_dscnt 0x402
	v_mul_f64_e32 v[63:64], v[45:46], v[26:27]
	;; [unrolled: 2-line block ×4, first 2 shown]
	v_mul_f64_e32 v[14:15], v[20:21], v[14:15]
	v_mul_f64_e32 v[26:27], v[6:7], v[26:27]
	;; [unrolled: 1-line block ×4, first 2 shown]
	s_wait_loadcnt 0x1
	v_mul_f64_e32 v[69:70], v[47:48], v[39:40]
	v_mul_f64_e32 v[39:40], v[8:9], v[39:40]
	s_wait_loadcnt 0x0
	v_mul_f64_e32 v[71:72], v[49:50], v[43:44]
	v_mul_f64_e32 v[43:44], v[2:3], v[43:44]
	v_fma_f64 v[20:21], v[20:21], v[12:13], v[58:59]
	v_fma_f64 v[6:7], v[6:7], v[24:25], v[63:64]
	;; [unrolled: 1-line block ×4, first 2 shown]
	v_fma_f64 v[0:1], v[0:1], v[12:13], -v[14:15]
	v_fma_f64 v[12:13], v[45:46], v[24:25], -v[26:27]
	;; [unrolled: 1-line block ×4, first 2 shown]
	v_fma_f64 v[8:9], v[8:9], v[37:38], v[69:70]
	v_fma_f64 v[24:25], v[47:48], v[37:38], -v[39:40]
	v_fma_f64 v[2:3], v[2:3], v[41:42], v[71:72]
	v_fma_f64 v[26:27], v[49:50], v[41:42], -v[43:44]
	ds_load_b64 v[47:48], v62
	global_wb scope:SCOPE_SE
	s_wait_dscnt 0x0
	s_barrier_signal -1
	s_barrier_wait -1
	global_inv scope:SCOPE_SE
	v_add_f64_e32 v[29:30], v[20:21], v[16:17]
	v_add_f64_e32 v[31:32], v[6:7], v[4:5]
	v_add_f64_e64 v[4:5], v[6:7], -v[4:5]
	v_add_f64_e32 v[33:34], v[0:1], v[14:15]
	v_add_f64_e32 v[35:36], v[12:13], v[18:19]
	v_add_f64_e64 v[12:13], v[12:13], -v[18:19]
	v_add_f64_e64 v[0:1], v[0:1], -v[14:15]
	v_add_f64_e32 v[18:19], v[8:9], v[2:3]
	v_add_f64_e64 v[37:38], v[26:27], -v[24:25]
	v_add_f64_e32 v[6:7], v[24:25], v[26:27]
	v_add_f64_e64 v[2:3], v[2:3], -v[8:9]
	v_add_f64_e64 v[8:9], v[20:21], -v[16:17]
	v_add_f64_e32 v[14:15], v[31:32], v[29:30]
	v_add_f64_e32 v[16:17], v[35:36], v[33:34]
	v_add_f64_e64 v[26:27], v[12:13], -v[0:1]
	v_add_f64_e64 v[20:21], v[29:30], -v[18:19]
	;; [unrolled: 1-line block ×6, first 2 shown]
	v_add_f64_e32 v[12:13], v[37:38], v[12:13]
	v_add_f64_e64 v[37:38], v[0:1], -v[37:38]
	v_add_f64_e64 v[29:30], v[31:32], -v[29:30]
	v_add_f64_e32 v[4:5], v[2:3], v[4:5]
	v_add_f64_e64 v[2:3], v[8:9], -v[2:3]
	v_add_f64_e64 v[33:34], v[35:36], -v[33:34]
	v_add_f64_e32 v[14:15], v[18:19], v[14:15]
	v_add_f64_e64 v[18:19], v[18:19], -v[31:32]
	v_add_f64_e32 v[16:17], v[6:7], v[16:17]
	v_add_f64_e64 v[6:7], v[6:7], -v[35:36]
	v_mul_f64_e32 v[45:46], s[0:1], v[26:27]
	v_mul_f64_e32 v[20:21], s[24:25], v[20:21]
	;; [unrolled: 1-line block ×6, first 2 shown]
	v_add_f64_e32 v[0:1], v[12:13], v[0:1]
	v_add_f64_e32 v[4:5], v[4:5], v[8:9]
	;; [unrolled: 1-line block ×3, first 2 shown]
	v_mul_f64_e32 v[31:32], s[4:5], v[18:19]
	v_add_f64_e32 v[47:48], v[47:48], v[16:17]
	v_mul_f64_e32 v[35:36], s[4:5], v[6:7]
	v_fma_f64 v[12:13], v[18:19], s[4:5], v[20:21]
	v_fma_f64 v[18:19], v[37:38], s[20:21], v[24:25]
	v_fma_f64 v[24:25], v[26:27], s[0:1], -v[24:25]
	v_fma_f64 v[26:27], v[37:38], s[22:23], -v[45:46]
	s_wait_alu 0xfffe
	v_fma_f64 v[20:21], v[29:30], s[18:19], -v[20:21]
	v_fma_f64 v[6:7], v[6:7], s[4:5], v[39:40]
	v_fma_f64 v[8:9], v[2:3], s[20:21], v[41:42]
	v_fma_f64 v[2:3], v[2:3], s[22:23], -v[49:50]
	v_fma_f64 v[37:38], v[33:34], s[18:19], -v[39:40]
	v_fma_f64 v[14:15], v[14:15], s[10:11], v[10:11]
	v_fma_f64 v[29:30], v[29:30], s[12:13], -v[31:32]
	v_fma_f64 v[31:32], v[43:44], s[0:1], -v[41:42]
	v_fma_f64 v[16:17], v[16:17], s[10:11], v[47:48]
	v_fma_f64 v[33:34], v[33:34], s[12:13], -v[35:36]
	v_fma_f64 v[18:19], v[0:1], s[14:15], v[18:19]
	v_fma_f64 v[24:25], v[0:1], s[14:15], v[24:25]
	;; [unrolled: 1-line block ×5, first 2 shown]
	v_add_f64_e32 v[12:13], v[12:13], v[14:15]
	v_add_f64_e32 v[20:21], v[20:21], v[14:15]
	;; [unrolled: 1-line block ×3, first 2 shown]
	v_fma_f64 v[26:27], v[4:5], s[14:15], v[31:32]
	v_add_f64_e32 v[4:5], v[6:7], v[16:17]
	v_add_f64_e32 v[6:7], v[37:38], v[16:17]
	;; [unrolled: 1-line block ×5, first 2 shown]
	v_add_f64_e64 v[33:34], v[14:15], -v[24:25]
	v_add_f64_e32 v[14:15], v[24:25], v[14:15]
	v_add_f64_e64 v[0:1], v[20:21], -v[0:1]
	v_add_f64_e64 v[12:13], v[12:13], -v[18:19]
	v_and_b32_e32 v18, 0xffff, v53
	v_add_f64_e64 v[20:21], v[6:7], -v[2:3]
	v_add_f64_e32 v[24:25], v[26:27], v[16:17]
	v_add_f64_e64 v[16:17], v[16:17], -v[26:27]
	v_add_f64_e32 v[26:27], v[2:3], v[6:7]
	v_mul_u32_u24_e32 v37, 0x578, v18
	v_add_f64_e64 v[18:19], v[4:5], -v[8:9]
	v_add_f64_e32 v[35:36], v[8:9], v[4:5]
	v_lshlrev_b32_e32 v2, 3, v73
	s_delay_alu instid0(VALU_DEP_1)
	v_add3_u32 v37, 0, v37, v2
	ds_store_2addr_b64 v37, v[10:11], v[29:30] offset1:25
	ds_store_2addr_b64 v37, v[31:32], v[33:34] offset0:50 offset1:75
	ds_store_2addr_b64 v37, v[14:15], v[0:1] offset0:100 offset1:125
	ds_store_b64 v37, v[12:13] offset:1200
	global_wb scope:SCOPE_SE
	s_wait_dscnt 0x0
	s_barrier_signal -1
	s_barrier_wait -1
	global_inv scope:SCOPE_SE
	ds_load_b64 v[10:11], v62 offset:8400
	ds_load_b64 v[8:9], v62
	ds_load_b64 v[12:13], v22 offset:1400
	ds_load_2addr_b64 v[0:3], v23 offset0:30 offset1:205
	ds_load_2addr_b64 v[4:7], v28 offset0:60 offset1:235
	global_wb scope:SCOPE_SE
	s_wait_dscnt 0x0
	s_barrier_signal -1
	s_barrier_wait -1
	global_inv scope:SCOPE_SE
	ds_store_2addr_b64 v37, v[47:48], v[18:19] offset1:25
	ds_store_2addr_b64 v37, v[20:21], v[24:25] offset0:50 offset1:75
	ds_store_2addr_b64 v37, v[16:17], v[26:27] offset0:100 offset1:125
	ds_store_b64 v37, v[35:36] offset:1200
	global_wb scope:SCOPE_SE
	s_wait_dscnt 0x0
	s_barrier_signal -1
	s_barrier_wait -1
	global_inv scope:SCOPE_SE
	s_and_saveexec_b32 s28, vcc_lo
	s_cbranch_execz .LBB0_29
; %bb.28:
	v_mul_u32_u24_e32 v14, 6, v61
	v_add_nc_u32_e32 v39, 0x1400, v62
	v_mul_lo_u32 v57, s2, v57
	v_lshlrev_b64_e32 v[53:54], 4, v[54:55]
	s_delay_alu instid0(VALU_DEP_4)
	v_lshlrev_b32_e32 v35, 4, v14
	s_clause 0x5
	global_load_b128 v[14:17], v35, s[8:9] offset:2736
	global_load_b128 v[18:21], v35, s[8:9] offset:2784
	;; [unrolled: 1-line block ×6, first 2 shown]
	s_wait_loadcnt 0x5
	v_mul_f64_e32 v[43:44], v[0:1], v[16:17]
	s_wait_loadcnt 0x4
	v_mul_f64_e32 v[45:46], v[6:7], v[20:21]
	;; [unrolled: 2-line block ×4, first 2 shown]
	v_mul_f64_e32 v[0:1], v[0:1], v[14:15]
	v_mul_f64_e32 v[6:7], v[6:7], v[18:19]
	;; [unrolled: 1-line block ×4, first 2 shown]
	v_add_nc_u32_e32 v10, 0xa00, v62
	ds_load_2addr_b64 v[10:13], v10 offset0:30 offset1:205
	ds_load_2addr_b64 v[39:42], v39 offset0:60 offset1:235
	ds_load_b64 v[63:64], v22 offset:1400
	ds_load_b64 v[65:66], v62 offset:8400
	ds_load_b64 v[61:62], v62
	s_wait_loadcnt 0x1
	v_mul_f64_e32 v[67:68], v[4:5], v[31:32]
	s_wait_loadcnt 0x0
	v_mul_f64_e32 v[69:70], v[2:3], v[35:36]
	v_mul_f64_e32 v[2:3], v[2:3], v[37:38]
	;; [unrolled: 1-line block ×3, first 2 shown]
	s_wait_dscnt 0x4
	v_fma_f64 v[14:15], v[10:11], v[14:15], -v[43:44]
	s_wait_dscnt 0x3
	v_fma_f64 v[18:19], v[41:42], v[18:19], -v[45:46]
	;; [unrolled: 2-line block ×4, first 2 shown]
	v_fma_f64 v[0:1], v[10:11], v[16:17], v[0:1]
	v_fma_f64 v[6:7], v[41:42], v[20:21], v[6:7]
	;; [unrolled: 1-line block ×4, first 2 shown]
	v_mad_co_u64_u32 v[51:52], null, s16, v60, 0
	v_mul_lo_u32 v58, s3, v56
	v_add_nc_u32_e32 v65, 0x2bc, v60
	v_add_nc_u32_e32 v66, 0x36b, v60
	;; [unrolled: 1-line block ×3, first 2 shown]
	v_fma_f64 v[20:21], v[39:40], v[33:34], v[67:68]
	v_fma_f64 v[24:25], v[12:13], v[37:38], v[69:70]
	v_fma_f64 v[2:3], v[12:13], v[35:36], -v[2:3]
	v_fma_f64 v[4:5], v[39:40], v[31:32], -v[4:5]
	v_add_nc_u32_e32 v67, 0x41a, v60
	v_add_nc_u32_e32 v64, 0x20d, v60
	v_add_f64_e32 v[12:13], v[14:15], v[18:19]
	v_add_f64_e32 v[29:30], v[22:23], v[27:28]
	;; [unrolled: 1-line block ×3, first 2 shown]
	v_add_f64_e64 v[0:1], v[0:1], -v[6:7]
	v_add_f64_e32 v[33:34], v[10:11], v[16:17]
	v_add_f64_e64 v[10:11], v[10:11], -v[16:17]
	v_add_f64_e64 v[35:36], v[20:21], -v[24:25]
	v_add_f64_e32 v[20:21], v[20:21], v[24:25]
	v_add_f64_e32 v[6:7], v[4:5], v[2:3]
	v_add_f64_e64 v[2:3], v[4:5], -v[2:3]
	v_add_f64_e64 v[4:5], v[14:15], -v[18:19]
	;; [unrolled: 1-line block ×3, first 2 shown]
	v_add_f64_e32 v[16:17], v[12:13], v[29:30]
	v_add_f64_e32 v[18:19], v[31:32], v[33:34]
	v_add_f64_e64 v[37:38], v[0:1], -v[10:11]
	v_add_f64_e64 v[22:23], v[35:36], -v[0:1]
	;; [unrolled: 1-line block ×4, first 2 shown]
	v_add_f64_e32 v[43:44], v[35:36], v[0:1]
	v_add_f64_e64 v[39:40], v[2:3], -v[4:5]
	v_add_f64_e64 v[41:42], v[4:5], -v[14:15]
	;; [unrolled: 1-line block ×3, first 2 shown]
	v_add_f64_e32 v[4:5], v[2:3], v[4:5]
	v_add_f64_e64 v[47:48], v[14:15], -v[2:3]
	v_add_f64_e32 v[16:17], v[6:7], v[16:17]
	v_add_f64_e64 v[6:7], v[6:7], -v[12:13]
	v_add_f64_e64 v[12:13], v[12:13], -v[29:30]
	v_add_f64_e32 v[18:19], v[20:21], v[18:19]
	v_add_f64_e64 v[20:21], v[20:21], -v[31:32]
	v_mul_f64_e32 v[45:46], s[0:1], v[37:38]
	v_mul_f64_e32 v[22:23], s[26:27], v[22:23]
	v_mul_f64_e32 v[26:27], s[24:25], v[26:27]
	v_mul_f64_e32 v[24:25], s[24:25], v[24:25]
	v_add_f64_e32 v[10:11], v[43:44], v[10:11]
	v_mul_f64_e32 v[39:40], s[26:27], v[39:40]
	v_mul_f64_e32 v[49:50], s[0:1], v[41:42]
	v_add_f64_e32 v[4:5], v[4:5], v[14:15]
	s_wait_dscnt 0x0
	v_add_f64_e32 v[2:3], v[61:62], v[16:17]
	v_mul_f64_e32 v[28:29], s[4:5], v[6:7]
	v_add_f64_e32 v[0:1], v[8:9], v[18:19]
	v_add_f64_e64 v[8:9], v[31:32], -v[33:34]
	v_mul_f64_e32 v[30:31], s[4:5], v[20:21]
	v_mad_co_u64_u32 v[32:33], null, s2, v56, 0
	v_fma_f64 v[14:15], v[35:36], s[20:21], v[22:23]
	v_fma_f64 v[20:21], v[20:21], s[4:5], v[26:27]
	;; [unrolled: 1-line block ×3, first 2 shown]
	v_fma_f64 v[34:35], v[35:36], s[22:23], -v[45:46]
	v_fma_f64 v[22:23], v[37:38], s[0:1], -v[22:23]
	;; [unrolled: 1-line block ×4, first 2 shown]
	v_mad_co_u64_u32 v[49:50], null, s16, v67, 0
	v_add3_u32 v33, v33, v57, v58
	v_mad_co_u64_u32 v[44:45], null, s16, v65, 0
	s_delay_alu instid0(VALU_DEP_2)
	v_lshlrev_b64_e32 v[32:33], 4, v[32:33]
	v_fma_f64 v[16:17], v[16:17], s[10:11], v[2:3]
	v_fma_f64 v[12:13], v[12:13], s[12:13], -v[28:29]
	v_fma_f64 v[28:29], v[47:48], s[20:21], v[39:40]
	v_fma_f64 v[38:39], v[41:42], s[0:1], -v[39:40]
	;; [unrolled: 2-line block ×3, first 2 shown]
	v_fma_f64 v[8:9], v[8:9], s[12:13], -v[30:31]
	v_mov_b32_e32 v48, v52
	v_mad_co_u64_u32 v[46:47], null, s16, v66, 0
	v_mad_co_u64_u32 v[42:43], null, s16, v64, 0
	s_delay_alu instid0(VALU_DEP_3)
	v_mad_co_u64_u32 v[55:56], null, s17, v60, v[48:49]
	v_dual_mov_b32 v48, v50 :: v_dual_add_nc_u32 v59, 0xaf, v60
	v_fma_f64 v[34:35], v[10:11], s[14:15], v[34:35]
	v_fma_f64 v[22:23], v[10:11], s[14:15], v[22:23]
	;; [unrolled: 1-line block ×3, first 2 shown]
	v_mov_b32_e32 v52, v55
	v_mad_co_u64_u32 v[30:31], null, s16, v59, 0
	s_delay_alu instid0(VALU_DEP_1) | instskip(SKIP_2) | instid1(VALU_DEP_3)
	v_mad_co_u64_u32 v[56:57], null, s17, v59, v[31:32]
	v_fma_f64 v[57:58], v[10:11], s[14:15], v[14:15]
	v_mad_co_u64_u32 v[14:15], null, s17, v65, v[45:46]
	v_mov_b32_e32 v31, v56
	v_add_f64_e32 v[59:60], v[6:7], v[16:17]
	v_add_f64_e32 v[24:25], v[24:25], v[16:17]
	;; [unrolled: 1-line block ×3, first 2 shown]
	v_fma_f64 v[28:29], v[4:5], s[14:15], v[28:29]
	v_fma_f64 v[4:5], v[4:5], s[14:15], v[38:39]
	v_add_f64_e32 v[38:39], v[20:21], v[18:19]
	v_add_f64_e32 v[61:62], v[26:27], v[18:19]
	;; [unrolled: 1-line block ×3, first 2 shown]
	v_mad_co_u64_u32 v[15:16], null, s17, v66, v[47:48]
	v_mad_co_u64_u32 v[16:17], null, s17, v67, v[48:49]
	v_mov_b32_e32 v45, v14
	v_lshlrev_b64_e32 v[30:31], 4, v[30:31]
	s_delay_alu instid0(VALU_DEP_3) | instskip(SKIP_1) | instid1(VALU_DEP_1)
	v_dual_mov_b32 v47, v15 :: v_dual_mov_b32 v50, v16
	v_mad_co_u64_u32 v[40:41], null, s16, v63, 0
	v_mad_co_u64_u32 v[6:7], null, s17, v63, v[41:42]
	v_add_co_u32 v7, vcc_lo, s6, v32
	s_delay_alu instid0(VALU_DEP_2)
	v_mov_b32_e32 v41, v6
	v_mad_co_u64_u32 v[10:11], null, s17, v64, v[43:44]
	s_wait_alu 0xfffd
	v_add_co_ci_u32_e32 v11, vcc_lo, s7, v33, vcc_lo
	v_add_co_u32 v48, vcc_lo, v7, v53
	v_add_f64_e64 v[14:15], v[12:13], -v[22:23]
	s_wait_alu 0xfffd
	s_delay_alu instid0(VALU_DEP_3)
	v_add_co_ci_u32_e32 v53, vcc_lo, v11, v54, vcc_lo
	v_mov_b32_e32 v43, v10
	v_add_f64_e32 v[10:11], v[34:35], v[24:25]
	v_add_f64_e32 v[18:19], v[22:23], v[12:13]
	v_add_f64_e64 v[22:23], v[24:25], -v[34:35]
	v_add_f64_e64 v[26:27], v[59:60], -v[57:58]
	v_add_f64_e32 v[24:25], v[28:29], v[38:39]
	v_add_f64_e32 v[20:21], v[36:37], v[61:62]
	v_add_f64_e64 v[16:17], v[8:9], -v[4:5]
	v_add_f64_e32 v[12:13], v[4:5], v[8:9]
	v_add_f64_e64 v[8:9], v[61:62], -v[36:37]
	;; [unrolled: 2-line block ×3, first 2 shown]
	v_lshlrev_b64_e32 v[32:33], 4, v[51:52]
	v_lshlrev_b64_e32 v[40:41], 4, v[40:41]
	;; [unrolled: 1-line block ×6, first 2 shown]
	v_add_co_u32 v32, vcc_lo, v48, v32
	s_wait_alu 0xfffd
	v_add_co_ci_u32_e32 v33, vcc_lo, v53, v33, vcc_lo
	v_add_co_u32 v30, vcc_lo, v48, v30
	s_wait_alu 0xfffd
	v_add_co_ci_u32_e32 v31, vcc_lo, v53, v31, vcc_lo
	;; [unrolled: 3-line block ×7, first 2 shown]
	s_clause 0x6
	global_store_b128 v[32:33], v[0:3], off
	global_store_b128 v[30:31], v[24:27], off
	;; [unrolled: 1-line block ×7, first 2 shown]
.LBB0_29:
	s_nop 0
	s_sendmsg sendmsg(MSG_DEALLOC_VGPRS)
	s_endpgm
	.section	.rodata,"a",@progbits
	.p2align	6, 0x0
	.amdhsa_kernel fft_rtc_back_len1225_factors_5_5_7_7_wgs_175_tpt_175_halfLds_dp_op_CI_CI_sbrr_dirReg
		.amdhsa_group_segment_fixed_size 0
		.amdhsa_private_segment_fixed_size 0
		.amdhsa_kernarg_size 104
		.amdhsa_user_sgpr_count 2
		.amdhsa_user_sgpr_dispatch_ptr 0
		.amdhsa_user_sgpr_queue_ptr 0
		.amdhsa_user_sgpr_kernarg_segment_ptr 1
		.amdhsa_user_sgpr_dispatch_id 0
		.amdhsa_user_sgpr_private_segment_size 0
		.amdhsa_wavefront_size32 1
		.amdhsa_uses_dynamic_stack 0
		.amdhsa_enable_private_segment 0
		.amdhsa_system_sgpr_workgroup_id_x 1
		.amdhsa_system_sgpr_workgroup_id_y 0
		.amdhsa_system_sgpr_workgroup_id_z 0
		.amdhsa_system_sgpr_workgroup_info 0
		.amdhsa_system_vgpr_workitem_id 0
		.amdhsa_next_free_vgpr 97
		.amdhsa_next_free_sgpr 43
		.amdhsa_reserve_vcc 1
		.amdhsa_float_round_mode_32 0
		.amdhsa_float_round_mode_16_64 0
		.amdhsa_float_denorm_mode_32 3
		.amdhsa_float_denorm_mode_16_64 3
		.amdhsa_fp16_overflow 0
		.amdhsa_workgroup_processor_mode 1
		.amdhsa_memory_ordered 1
		.amdhsa_forward_progress 0
		.amdhsa_round_robin_scheduling 0
		.amdhsa_exception_fp_ieee_invalid_op 0
		.amdhsa_exception_fp_denorm_src 0
		.amdhsa_exception_fp_ieee_div_zero 0
		.amdhsa_exception_fp_ieee_overflow 0
		.amdhsa_exception_fp_ieee_underflow 0
		.amdhsa_exception_fp_ieee_inexact 0
		.amdhsa_exception_int_div_zero 0
	.end_amdhsa_kernel
	.text
.Lfunc_end0:
	.size	fft_rtc_back_len1225_factors_5_5_7_7_wgs_175_tpt_175_halfLds_dp_op_CI_CI_sbrr_dirReg, .Lfunc_end0-fft_rtc_back_len1225_factors_5_5_7_7_wgs_175_tpt_175_halfLds_dp_op_CI_CI_sbrr_dirReg
                                        ; -- End function
	.section	.AMDGPU.csdata,"",@progbits
; Kernel info:
; codeLenInByte = 8160
; NumSgprs: 45
; NumVgprs: 97
; ScratchSize: 0
; MemoryBound: 1
; FloatMode: 240
; IeeeMode: 1
; LDSByteSize: 0 bytes/workgroup (compile time only)
; SGPRBlocks: 5
; VGPRBlocks: 12
; NumSGPRsForWavesPerEU: 45
; NumVGPRsForWavesPerEU: 97
; Occupancy: 12
; WaveLimiterHint : 1
; COMPUTE_PGM_RSRC2:SCRATCH_EN: 0
; COMPUTE_PGM_RSRC2:USER_SGPR: 2
; COMPUTE_PGM_RSRC2:TRAP_HANDLER: 0
; COMPUTE_PGM_RSRC2:TGID_X_EN: 1
; COMPUTE_PGM_RSRC2:TGID_Y_EN: 0
; COMPUTE_PGM_RSRC2:TGID_Z_EN: 0
; COMPUTE_PGM_RSRC2:TIDIG_COMP_CNT: 0
	.text
	.p2alignl 7, 3214868480
	.fill 96, 4, 3214868480
	.type	__hip_cuid_15d0dfb2e7d7c3a3,@object ; @__hip_cuid_15d0dfb2e7d7c3a3
	.section	.bss,"aw",@nobits
	.globl	__hip_cuid_15d0dfb2e7d7c3a3
__hip_cuid_15d0dfb2e7d7c3a3:
	.byte	0                               ; 0x0
	.size	__hip_cuid_15d0dfb2e7d7c3a3, 1

	.ident	"AMD clang version 19.0.0git (https://github.com/RadeonOpenCompute/llvm-project roc-6.4.0 25133 c7fe45cf4b819c5991fe208aaa96edf142730f1d)"
	.section	".note.GNU-stack","",@progbits
	.addrsig
	.addrsig_sym __hip_cuid_15d0dfb2e7d7c3a3
	.amdgpu_metadata
---
amdhsa.kernels:
  - .args:
      - .actual_access:  read_only
        .address_space:  global
        .offset:         0
        .size:           8
        .value_kind:     global_buffer
      - .offset:         8
        .size:           8
        .value_kind:     by_value
      - .actual_access:  read_only
        .address_space:  global
        .offset:         16
        .size:           8
        .value_kind:     global_buffer
      - .actual_access:  read_only
        .address_space:  global
        .offset:         24
        .size:           8
        .value_kind:     global_buffer
      - .actual_access:  read_only
        .address_space:  global
        .offset:         32
        .size:           8
        .value_kind:     global_buffer
      - .offset:         40
        .size:           8
        .value_kind:     by_value
      - .actual_access:  read_only
        .address_space:  global
        .offset:         48
        .size:           8
        .value_kind:     global_buffer
      - .actual_access:  read_only
        .address_space:  global
        .offset:         56
        .size:           8
        .value_kind:     global_buffer
      - .offset:         64
        .size:           4
        .value_kind:     by_value
      - .actual_access:  read_only
        .address_space:  global
        .offset:         72
        .size:           8
        .value_kind:     global_buffer
      - .actual_access:  read_only
        .address_space:  global
        .offset:         80
        .size:           8
        .value_kind:     global_buffer
      - .actual_access:  read_only
        .address_space:  global
        .offset:         88
        .size:           8
        .value_kind:     global_buffer
      - .actual_access:  write_only
        .address_space:  global
        .offset:         96
        .size:           8
        .value_kind:     global_buffer
    .group_segment_fixed_size: 0
    .kernarg_segment_align: 8
    .kernarg_segment_size: 104
    .language:       OpenCL C
    .language_version:
      - 2
      - 0
    .max_flat_workgroup_size: 175
    .name:           fft_rtc_back_len1225_factors_5_5_7_7_wgs_175_tpt_175_halfLds_dp_op_CI_CI_sbrr_dirReg
    .private_segment_fixed_size: 0
    .sgpr_count:     45
    .sgpr_spill_count: 0
    .symbol:         fft_rtc_back_len1225_factors_5_5_7_7_wgs_175_tpt_175_halfLds_dp_op_CI_CI_sbrr_dirReg.kd
    .uniform_work_group_size: 1
    .uses_dynamic_stack: false
    .vgpr_count:     97
    .vgpr_spill_count: 0
    .wavefront_size: 32
    .workgroup_processor_mode: 1
amdhsa.target:   amdgcn-amd-amdhsa--gfx1201
amdhsa.version:
  - 1
  - 2
...

	.end_amdgpu_metadata
